;; amdgpu-corpus repo=ROCm/rocFFT kind=compiled arch=gfx1201 opt=O3
	.text
	.amdgcn_target "amdgcn-amd-amdhsa--gfx1201"
	.amdhsa_code_object_version 6
	.protected	bluestein_single_back_len112_dim1_dp_op_CI_CI ; -- Begin function bluestein_single_back_len112_dim1_dp_op_CI_CI
	.globl	bluestein_single_back_len112_dim1_dp_op_CI_CI
	.p2align	8
	.type	bluestein_single_back_len112_dim1_dp_op_CI_CI,@function
bluestein_single_back_len112_dim1_dp_op_CI_CI: ; @bluestein_single_back_len112_dim1_dp_op_CI_CI
; %bb.0:
	s_load_b128 s[8:11], s[0:1], 0x28
	v_lshrrev_b32_e32 v1, 4, v0
	v_mov_b32_e32 v89, 0
	s_mov_b32 s2, exec_lo
	s_delay_alu instid0(VALU_DEP_2) | instskip(SKIP_1) | instid1(VALU_DEP_1)
	v_lshl_or_b32 v88, ttmp9, 4, v1
	s_wait_kmcnt 0x0
	v_cmpx_gt_u64_e64 s[8:9], v[88:89]
	s_cbranch_execz .LBB0_15
; %bb.1:
	s_clause 0x1
	s_load_b64 s[8:9], s[0:1], 0x0
	s_load_b64 s[12:13], s[0:1], 0x38
	v_and_b32_e32 v91, 15, v0
	v_mul_u32_u24_e32 v92, 0x70, v1
	s_delay_alu instid0(VALU_DEP_2) | instskip(SKIP_1) | instid1(VALU_DEP_3)
	v_cmp_gt_u32_e32 vcc_lo, 7, v91
	v_lshlrev_b32_e32 v89, 4, v91
	v_or_b32_e32 v64, v92, v91
	v_add_lshl_u32 v42, v92, v91, 4
	v_or_b32_e32 v90, 56, v91
	s_and_saveexec_b32 s3, vcc_lo
	s_cbranch_execz .LBB0_3
; %bb.2:
	s_load_b64 s[4:5], s[0:1], 0x18
	s_wait_kmcnt 0x0
	s_load_b128 s[4:7], s[4:5], 0x0
	s_wait_kmcnt 0x0
	v_mad_co_u64_u32 v[0:1], null, s6, v88, 0
	v_mad_co_u64_u32 v[2:3], null, s4, v91, 0
	;; [unrolled: 1-line block ×3, first 2 shown]
	s_delay_alu instid0(VALU_DEP_2) | instskip(SKIP_1) | instid1(VALU_DEP_2)
	v_mad_co_u64_u32 v[4:5], null, s7, v88, v[1:2]
	s_mul_u64 s[6:7], s[4:5], 0x70
	v_mov_b32_e32 v8, v33
	s_delay_alu instid0(VALU_DEP_2) | instskip(SKIP_1) | instid1(VALU_DEP_3)
	v_mad_co_u64_u32 v[5:6], null, s5, v91, v[3:4]
	v_mov_b32_e32 v1, v4
	v_mad_co_u64_u32 v[24:25], null, s5, v90, v[8:9]
	s_delay_alu instid0(VALU_DEP_2) | instskip(NEXT) | instid1(VALU_DEP_4)
	v_lshlrev_b64_e32 v[0:1], 4, v[0:1]
	v_mov_b32_e32 v3, v5
	s_delay_alu instid0(VALU_DEP_3) | instskip(NEXT) | instid1(VALU_DEP_2)
	v_mov_b32_e32 v33, v24
	v_lshlrev_b64_e32 v[2:3], 4, v[2:3]
	s_delay_alu instid0(VALU_DEP_4) | instskip(NEXT) | instid1(VALU_DEP_1)
	v_add_co_u32 v53, s2, s10, v0
	v_add_co_ci_u32_e64 v54, s2, s11, v1, s2
	s_delay_alu instid0(VALU_DEP_4) | instskip(NEXT) | instid1(VALU_DEP_3)
	v_lshlrev_b64_e32 v[51:52], 4, v[32:33]
	v_add_co_u32 v40, s2, v53, v2
	s_wait_alu 0xf1ff
	s_delay_alu instid0(VALU_DEP_3)
	v_add_co_ci_u32_e64 v41, s2, v54, v3, s2
	s_clause 0x1
	global_load_b128 v[0:3], v89, s[8:9]
	global_load_b128 v[4:7], v89, s[8:9] offset:112
	s_wait_alu 0xfffe
	v_add_co_u32 v69, s2, v40, s6
	s_wait_alu 0xf1ff
	v_add_co_ci_u32_e64 v70, s2, s7, v41, s2
	s_clause 0x1
	global_load_b128 v[8:11], v89, s[8:9] offset:224
	global_load_b128 v[12:15], v89, s[8:9] offset:336
	v_add_co_u32 v73, s2, v69, s6
	s_wait_alu 0xf1ff
	v_add_co_ci_u32_e64 v74, s2, s7, v70, s2
	s_clause 0x1
	global_load_b128 v[16:19], v89, s[8:9] offset:448
	global_load_b128 v[20:23], v89, s[8:9] offset:560
	;; [unrolled: 6-line block ×4, first 2 shown]
	global_load_b128 v[43:46], v89, s[8:9] offset:1120
	global_load_b128 v[47:50], v89, s[8:9] offset:1232
	v_add_co_u32 v85, s2, v81, s6
	s_wait_alu 0xf1ff
	v_add_co_ci_u32_e64 v86, s2, s7, v82, s2
	s_delay_alu instid0(VALU_DEP_2) | instskip(SKIP_1) | instid1(VALU_DEP_2)
	v_add_co_u32 v97, s2, v85, s6
	s_wait_alu 0xf1ff
	v_add_co_ci_u32_e64 v98, s2, s7, v86, s2
	s_delay_alu instid0(VALU_DEP_2) | instskip(SKIP_1) | instid1(VALU_DEP_2)
	v_add_co_u32 v101, s2, v97, s6
	s_wait_alu 0xf1ff
	v_add_co_ci_u32_e64 v102, s2, s7, v98, s2
	v_add_co_u32 v60, s2, v53, v51
	s_wait_alu 0xf1ff
	v_add_co_ci_u32_e64 v61, s2, v54, v52, s2
	s_delay_alu instid0(VALU_DEP_3) | instskip(SKIP_4) | instid1(VALU_DEP_1)
	v_mad_co_u64_u32 v[105:106], null, 0xe0, s4, v[101:102]
	s_clause 0x1
	global_load_b128 v[51:54], v89, s[8:9] offset:1344
	global_load_b128 v[55:58], v89, s[8:9] offset:1456
	v_mov_b32_e32 v59, v106
	v_mad_co_u64_u32 v[99:100], null, 0xe0, s5, v[59:60]
	s_clause 0x5
	global_load_b128 v[59:62], v[60:61], off
	global_load_b128 v[65:68], v[40:41], off
	;; [unrolled: 1-line block ×7, first 2 shown]
	v_add_co_u32 v40, s2, v105, s6
	global_load_b128 v[101:104], v[101:102], off
	v_mov_b32_e32 v106, v99
	global_load_b128 v[97:100], v[97:98], off
	s_wait_alu 0xf1ff
	v_add_co_ci_u32_e64 v41, s2, s7, v106, s2
	v_add_co_u32 v85, s2, v40, s6
	global_load_b128 v[105:108], v[105:106], off
	s_wait_alu 0xf1ff
	v_add_co_ci_u32_e64 v86, s2, s7, v41, s2
	v_add_co_u32 v117, s2, v85, s6
	;; [unrolled: 4-line block ×5, first 2 shown]
	s_wait_alu 0xf1ff
	s_delay_alu instid0(VALU_DEP_2)
	v_add_co_ci_u32_e64 v138, s2, s7, v86, s2
	global_load_b128 v[121:124], v[40:41], off
	global_load_b128 v[125:128], v[85:86], off
	s_clause 0x1
	global_load_b128 v[129:132], v89, s[8:9] offset:1568
	global_load_b128 v[133:136], v89, s[8:9] offset:1680
	global_load_b128 v[137:140], v[137:138], off
	s_wait_loadcnt 0x11
	v_mul_f64_e32 v[85:86], v[61:62], v[34:35]
	s_wait_loadcnt 0x10
	v_mul_f64_e32 v[40:41], v[67:68], v[2:3]
	v_mul_f64_e32 v[2:3], v[65:66], v[2:3]
	;; [unrolled: 1-line block ×3, first 2 shown]
	s_wait_loadcnt 0xf
	v_mul_f64_e32 v[141:142], v[71:72], v[6:7]
	v_mul_f64_e32 v[6:7], v[69:70], v[6:7]
	s_wait_loadcnt 0xe
	v_mul_f64_e32 v[143:144], v[75:76], v[10:11]
	v_mul_f64_e32 v[10:11], v[73:74], v[10:11]
	;; [unrolled: 3-line block ×6, first 2 shown]
	v_mul_f64_e32 v[153:154], v[103:104], v[30:31]
	v_mul_f64_e32 v[155:156], v[101:102], v[30:31]
	s_wait_loadcnt 0x8
	v_mul_f64_e32 v[157:158], v[107:108], v[38:39]
	v_mul_f64_e32 v[159:160], v[105:106], v[38:39]
	s_wait_loadcnt 0x7
	;; [unrolled: 3-line block ×4, first 2 shown]
	v_mul_f64_e32 v[165:166], v[119:120], v[53:54]
	v_mul_f64_e32 v[53:54], v[117:118], v[53:54]
	v_fma_f64 v[38:39], v[65:66], v[0:1], v[40:41]
	s_wait_loadcnt 0x4
	v_mul_f64_e32 v[167:168], v[123:124], v[57:58]
	v_mul_f64_e32 v[169:170], v[121:122], v[57:58]
	s_wait_loadcnt 0x2
	v_mul_f64_e32 v[171:172], v[127:128], v[131:132]
	v_mul_f64_e32 v[131:132], v[125:126], v[131:132]
	;; [unrolled: 3-line block ×3, first 2 shown]
	v_fma_f64 v[40:41], v[67:68], v[0:1], -v[2:3]
	v_fma_f64 v[0:1], v[59:60], v[32:33], v[85:86]
	v_fma_f64 v[2:3], v[61:62], v[32:33], -v[34:35]
	v_fma_f64 v[30:31], v[69:70], v[4:5], v[141:142]
	;; [unrolled: 2-line block ×8, first 2 shown]
	v_fma_f64 v[26:27], v[103:104], v[28:29], -v[155:156]
	v_lshlrev_b32_e32 v28, 4, v64
	v_fma_f64 v[34:35], v[105:106], v[36:37], v[157:158]
	v_fma_f64 v[36:37], v[107:108], v[36:37], -v[159:160]
	v_fma_f64 v[57:58], v[109:110], v[43:44], v[161:162]
	v_fma_f64 v[59:60], v[111:112], v[43:44], -v[45:46]
	v_lshl_add_u32 v29, v92, 4, v89
	v_fma_f64 v[43:44], v[113:114], v[47:48], v[163:164]
	v_fma_f64 v[45:46], v[115:116], v[47:48], -v[49:50]
	v_fma_f64 v[47:48], v[117:118], v[51:52], v[165:166]
	v_fma_f64 v[49:50], v[119:120], v[51:52], -v[53:54]
	;; [unrolled: 2-line block ×5, first 2 shown]
	ds_store_b128 v28, v[38:41]
	ds_store_b128 v42, v[30:33] offset:112
	ds_store_b128 v29, v[4:7] offset:224
	;; [unrolled: 1-line block ×15, first 2 shown]
.LBB0_3:
	s_or_b32 exec_lo, exec_lo, s3
	s_clause 0x1
	s_load_b64 s[2:3], s[0:1], 0x20
	s_load_b64 s[4:5], s[0:1], 0x8
	v_lshlrev_b32_e32 v94, 4, v92
	global_wb scope:SCOPE_SE
	s_wait_dscnt 0x0
	s_wait_kmcnt 0x0
	s_barrier_signal -1
	s_barrier_wait -1
	global_inv scope:SCOPE_SE
                                        ; implicit-def: $vgpr54_vgpr55
                                        ; implicit-def: $vgpr30_vgpr31
                                        ; implicit-def: $vgpr14_vgpr15
                                        ; implicit-def: $vgpr2_vgpr3
                                        ; implicit-def: $vgpr60_vgpr61
                                        ; implicit-def: $vgpr48_vgpr49
                                        ; implicit-def: $vgpr56_vgpr57
                                        ; implicit-def: $vgpr36_vgpr37
                                        ; implicit-def: $vgpr44_vgpr45
                                        ; implicit-def: $vgpr32_vgpr33
                                        ; implicit-def: $vgpr24_vgpr25
                                        ; implicit-def: $vgpr20_vgpr21
                                        ; implicit-def: $vgpr16_vgpr17
                                        ; implicit-def: $vgpr8_vgpr9
                                        ; implicit-def: $vgpr4_vgpr5
                                        ; implicit-def: $vgpr40_vgpr41
	s_and_saveexec_b32 s0, vcc_lo
	s_cbranch_execz .LBB0_5
; %bb.4:
	v_lshlrev_b32_e32 v0, 4, v64
	v_lshl_add_u32 v52, v91, 4, v94
	ds_load_b128 v[0:3], v0
	ds_load_b128 v[4:7], v52 offset:224
	ds_load_b128 v[8:11], v52 offset:336
	;; [unrolled: 1-line block ×15, first 2 shown]
.LBB0_5:
	s_wait_alu 0xfffe
	s_or_b32 exec_lo, exec_lo, s0
	s_wait_dscnt 0x8
	v_add_f64_e64 v[32:33], v[0:1], -v[32:33]
	v_add_f64_e64 v[34:35], v[2:3], -v[34:35]
	s_wait_dscnt 0x4
	v_add_f64_e64 v[56:57], v[16:17], -v[56:57]
	v_add_f64_e64 v[58:59], v[18:19], -v[58:59]
	;; [unrolled: 1-line block ×4, first 2 shown]
	s_wait_dscnt 0x2
	v_add_f64_e64 v[60:61], v[12:13], -v[60:61]
	v_add_f64_e64 v[62:63], v[14:15], -v[62:63]
	s_wait_dscnt 0x1
	v_add_f64_e64 v[28:29], v[40:41], -v[28:29]
	v_add_f64_e64 v[30:31], v[42:43], -v[30:31]
	;; [unrolled: 1-line block ×6, first 2 shown]
	s_wait_dscnt 0x0
	v_add_f64_e64 v[54:55], v[26:27], -v[54:55]
	v_add_f64_e64 v[52:53], v[24:25], -v[52:53]
	s_mov_b32 s0, 0x667f3bcd
	s_mov_b32 s1, 0xbfe6a09e
	;; [unrolled: 1-line block ×3, first 2 shown]
	s_wait_alu 0xfffe
	s_mov_b32 s6, s0
	s_mov_b32 s10, 0xcf328d46
	;; [unrolled: 1-line block ×4, first 2 shown]
	s_wait_alu 0xfffe
	s_mov_b32 s14, s10
	s_mov_b32 s16, 0xa6aea964
	;; [unrolled: 1-line block ×5, first 2 shown]
	global_wb scope:SCOPE_SE
	s_barrier_signal -1
	s_barrier_wait -1
	global_inv scope:SCOPE_SE
	v_fma_f64 v[0:1], v[0:1], 2.0, -v[32:33]
	v_fma_f64 v[2:3], v[2:3], 2.0, -v[34:35]
	v_add_f64_e32 v[67:68], v[34:35], v[56:57]
	v_add_f64_e64 v[65:66], v[32:33], -v[58:59]
	v_fma_f64 v[16:17], v[16:17], 2.0, -v[56:57]
	v_fma_f64 v[18:19], v[18:19], 2.0, -v[58:59]
	v_add_f64_e32 v[71:72], v[60:61], v[46:47]
	v_add_f64_e64 v[69:70], v[44:45], -v[62:63]
	v_fma_f64 v[4:5], v[4:5], 2.0, -v[44:45]
	v_fma_f64 v[6:7], v[6:7], 2.0, -v[46:47]
	v_add_f64_e32 v[75:76], v[48:49], v[30:31]
	v_add_f64_e64 v[73:74], v[28:29], -v[50:51]
	v_fma_f64 v[12:13], v[12:13], 2.0, -v[60:61]
	v_fma_f64 v[14:15], v[14:15], 2.0, -v[62:63]
	v_add_f64_e64 v[77:78], v[36:37], -v[54:55]
	v_add_f64_e32 v[79:80], v[52:53], v[38:39]
	v_fma_f64 v[40:41], v[40:41], 2.0, -v[28:29]
	v_fma_f64 v[42:43], v[42:43], 2.0, -v[30:31]
	;; [unrolled: 1-line block ×10, first 2 shown]
	v_add_f64_e64 v[16:17], v[0:1], -v[16:17]
	v_add_f64_e64 v[18:19], v[2:3], -v[18:19]
	v_fma_f64 v[46:47], v[46:47], 2.0, -v[71:72]
	v_fma_f64 v[44:45], v[44:45], 2.0, -v[69:70]
	v_fma_f64 v[50:51], v[71:72], s[6:7], v[67:68]
	v_fma_f64 v[30:31], v[30:31], 2.0, -v[75:76]
	v_fma_f64 v[28:29], v[28:29], 2.0, -v[73:74]
	v_add_f64_e64 v[12:13], v[4:5], -v[12:13]
	v_add_f64_e64 v[14:15], v[6:7], -v[14:15]
	v_fma_f64 v[36:37], v[36:37], 2.0, -v[77:78]
	v_fma_f64 v[38:39], v[38:39], 2.0, -v[79:80]
	v_fma_f64 v[52:53], v[77:78], s[6:7], v[73:74]
	v_fma_f64 v[54:55], v[79:80], s[6:7], v[75:76]
	v_add_f64_e64 v[48:49], v[40:41], -v[20:21]
	v_add_f64_e64 v[22:23], v[42:43], -v[22:23]
	v_fma_f64 v[20:21], v[69:70], s[6:7], v[65:66]
	v_add_f64_e64 v[24:25], v[8:9], -v[24:25]
	v_add_f64_e64 v[26:27], v[10:11], -v[26:27]
	v_fma_f64 v[81:82], v[0:1], 2.0, -v[16:17]
	v_fma_f64 v[83:84], v[2:3], 2.0, -v[18:19]
	v_fma_f64 v[58:59], v[46:47], s[0:1], v[34:35]
	v_fma_f64 v[56:57], v[44:45], s[0:1], v[32:33]
	;; [unrolled: 1-line block ×3, first 2 shown]
	v_fma_f64 v[4:5], v[4:5], 2.0, -v[12:13]
	v_fma_f64 v[6:7], v[6:7], 2.0, -v[14:15]
	v_fma_f64 v[60:61], v[36:37], s[0:1], v[28:29]
	v_fma_f64 v[62:63], v[38:39], s[0:1], v[30:31]
	v_add_f64_e64 v[0:1], v[16:17], -v[14:15]
	v_add_f64_e32 v[12:13], v[18:19], v[12:13]
	v_fma_f64 v[40:41], v[40:41], 2.0, -v[48:49]
	v_fma_f64 v[42:43], v[42:43], 2.0, -v[22:23]
	v_fma_f64 v[71:72], v[71:72], s[0:1], v[20:21]
	v_fma_f64 v[79:80], v[79:80], s[0:1], v[52:53]
	v_fma_f64 v[14:15], v[8:9], 2.0, -v[24:25]
	v_fma_f64 v[50:51], v[10:11], 2.0, -v[26:27]
	v_add_f64_e64 v[26:27], v[48:49], -v[26:27]
	v_add_f64_e32 v[24:25], v[24:25], v[22:23]
	v_fma_f64 v[52:53], v[77:78], s[6:7], v[54:55]
	v_fma_f64 v[10:11], v[44:45], s[6:7], v[58:59]
	;; [unrolled: 1-line block ×3, first 2 shown]
	v_fma_f64 v[20:21], v[67:68], 2.0, -v[69:70]
	v_add_f64_e64 v[4:5], v[81:82], -v[4:5]
	v_fma_f64 v[77:78], v[38:39], s[0:1], v[60:61]
	v_fma_f64 v[85:86], v[36:37], s[6:7], v[62:63]
	v_add_f64_e64 v[62:63], v[83:84], -v[6:7]
	v_fma_f64 v[6:7], v[16:17], 2.0, -v[0:1]
	v_fma_f64 v[16:17], v[18:19], 2.0, -v[12:13]
	v_fma_f64 v[8:9], v[65:66], 2.0, -v[71:72]
	v_fma_f64 v[54:55], v[79:80], s[14:15], v[71:72]
	v_add_f64_e64 v[38:39], v[40:41], -v[14:15]
	v_add_f64_e64 v[36:37], v[42:43], -v[50:51]
	v_fma_f64 v[46:47], v[48:49], 2.0, -v[26:27]
	v_fma_f64 v[44:45], v[22:23], 2.0, -v[24:25]
	;; [unrolled: 1-line block ×4, first 2 shown]
	v_fma_f64 v[58:59], v[24:25], s[6:7], v[12:13]
	v_fma_f64 v[60:61], v[34:35], 2.0, -v[10:11]
	v_fma_f64 v[14:15], v[32:33], 2.0, -v[2:3]
	;; [unrolled: 1-line block ×5, first 2 shown]
	v_fma_f64 v[28:29], v[52:53], s[14:15], v[69:70]
	v_fma_f64 v[30:31], v[26:27], s[6:7], v[0:1]
	v_fma_f64 v[22:23], v[83:84], 2.0, -v[62:63]
	v_fma_f64 v[81:82], v[77:78], s[18:19], v[2:3]
	v_fma_f64 v[83:84], v[85:86], s[18:19], v[10:11]
	;; [unrolled: 1-line block ×3, first 2 shown]
	v_fma_f64 v[40:41], v[40:41], 2.0, -v[38:39]
	v_fma_f64 v[42:43], v[42:43], 2.0, -v[36:37]
	v_fma_f64 v[65:66], v[46:47], s[0:1], v[6:7]
	v_fma_f64 v[67:68], v[44:45], s[0:1], v[16:17]
	;; [unrolled: 1-line block ×4, first 2 shown]
	v_add_f64_e64 v[36:37], v[4:5], -v[36:37]
	v_add_f64_e32 v[38:39], v[62:63], v[38:39]
	v_fma_f64 v[58:59], v[26:27], s[6:7], v[58:59]
	v_fma_f64 v[95:96], v[34:35], s[10:11], v[14:15]
	;; [unrolled: 1-line block ×5, first 2 shown]
	v_fma_f64 v[24:25], v[71:72], 2.0, -v[52:53]
	v_add_f64_e64 v[28:29], v[18:19], -v[40:41]
	v_add_f64_e64 v[30:31], v[22:23], -v[42:43]
	v_fma_f64 v[44:45], v[44:45], s[0:1], v[65:66]
	v_fma_f64 v[46:47], v[46:47], s[6:7], v[67:68]
	v_fma_f64 v[40:41], v[50:51], s[10:11], v[73:74]
	v_fma_f64 v[42:43], v[48:49], s[14:15], v[75:76]
	v_fma_f64 v[48:49], v[85:86], s[10:11], v[81:82]
	v_fma_f64 v[50:51], v[77:78], s[14:15], v[83:84]
	v_fma_f64 v[32:33], v[32:33], s[16:17], v[95:96]
	v_fma_f64 v[34:35], v[34:35], s[18:19], v[97:98]
	v_fma_f64 v[26:27], v[69:70], 2.0, -v[54:55]
	s_and_saveexec_b32 s0, vcc_lo
	s_cbranch_execz .LBB0_7
; %bb.6:
	v_fma_f64 v[75:76], v[22:23], 2.0, -v[30:31]
	v_fma_f64 v[73:74], v[18:19], 2.0, -v[28:29]
	s_delay_alu instid0(VALU_DEP_4)
	v_fma_f64 v[71:72], v[60:61], 2.0, -v[34:35]
	v_fma_f64 v[69:70], v[14:15], 2.0, -v[32:33]
	;; [unrolled: 1-line block ×12, first 2 shown]
	v_add_lshl_u32 v0, v92, v89, 4
	ds_store_b128 v0, v[28:31] offset:128
	ds_store_b128 v0, v[32:35] offset:144
	;; [unrolled: 1-line block ×6, first 2 shown]
	ds_store_b128 v0, v[73:76]
	ds_store_b128 v0, v[69:72] offset:16
	ds_store_b128 v0, v[14:17] offset:32
	;; [unrolled: 1-line block ×9, first 2 shown]
.LBB0_7:
	s_wait_alu 0xfffe
	s_or_b32 exec_lo, exec_lo, s0
	v_mul_u32_u24_e32 v0, 6, v91
	s_load_b128 s[0:3], s[2:3], 0x0
	global_wb scope:SCOPE_SE
	s_wait_dscnt 0x0
	s_wait_kmcnt 0x0
	s_barrier_signal -1
	s_barrier_wait -1
	v_lshlrev_b32_e32 v12, 4, v0
	global_inv scope:SCOPE_SE
	v_lshlrev_b32_e32 v93, 4, v64
	s_mov_b32 s6, 0x36b3c0b5
	s_mov_b32 s10, 0xe976ee23
	s_clause 0x5
	global_load_b128 v[4:7], v12, s[4:5]
	global_load_b128 v[0:3], v12, s[4:5] offset:16
	global_load_b128 v[8:11], v12, s[4:5] offset:80
	;; [unrolled: 1-line block ×5, first 2 shown]
	ds_load_b128 v[60:63], v93 offset:256
	ds_load_b128 v[64:67], v93 offset:512
	;; [unrolled: 1-line block ×6, first 2 shown]
	s_mov_b32 s4, 0x37e14327
	s_mov_b32 s5, 0x3fe948f6
	;; [unrolled: 1-line block ×8, first 2 shown]
	v_lshl_add_u32 v94, v91, 4, v94
	s_wait_loadcnt_dscnt 0x505
	v_mul_f64_e32 v[84:85], v[62:63], v[6:7]
	v_mul_f64_e32 v[86:87], v[60:61], v[6:7]
	s_wait_loadcnt_dscnt 0x404
	v_mul_f64_e32 v[95:96], v[66:67], v[2:3]
	v_mul_f64_e32 v[97:98], v[64:65], v[2:3]
	;; [unrolled: 3-line block ×6, first 2 shown]
	v_fma_f64 v[60:61], v[60:61], v[4:5], -v[84:85]
	v_fma_f64 v[62:63], v[62:63], v[4:5], v[86:87]
	v_fma_f64 v[64:65], v[64:65], v[0:1], -v[95:96]
	v_fma_f64 v[66:67], v[66:67], v[0:1], v[97:98]
	;; [unrolled: 2-line block ×6, first 2 shown]
	v_add_f64_e32 v[84:85], v[60:61], v[68:69]
	v_add_f64_e32 v[86:87], v[62:63], v[70:71]
	;; [unrolled: 1-line block ×4, first 2 shown]
	v_add_f64_e64 v[64:65], v[64:65], -v[72:73]
	v_add_f64_e64 v[66:67], v[66:67], -v[74:75]
	v_add_f64_e32 v[99:100], v[76:77], v[80:81]
	v_add_f64_e32 v[101:102], v[78:79], v[82:83]
	v_add_f64_e64 v[72:73], v[80:81], -v[76:77]
	v_add_f64_e64 v[74:75], v[82:83], -v[78:79]
	;; [unrolled: 1-line block ×4, first 2 shown]
	v_add_f64_e32 v[60:61], v[95:96], v[84:85]
	v_add_f64_e32 v[62:63], v[97:98], v[86:87]
	v_add_f64_e64 v[76:77], v[84:85], -v[99:100]
	v_add_f64_e64 v[78:79], v[86:87], -v[101:102]
	v_add_f64_e64 v[80:81], v[99:100], -v[95:96]
	v_add_f64_e64 v[82:83], v[101:102], -v[97:98]
	v_add_f64_e64 v[103:104], v[72:73], -v[64:65]
	v_add_f64_e64 v[105:106], v[74:75], -v[66:67]
	v_add_f64_e64 v[107:108], v[64:65], -v[68:69]
	v_add_f64_e64 v[109:110], v[66:67], -v[70:71]
	v_add_f64_e64 v[84:85], v[95:96], -v[84:85]
	v_add_f64_e64 v[86:87], v[97:98], -v[86:87]
	v_add_f64_e32 v[64:65], v[72:73], v[64:65]
	v_add_f64_e32 v[66:67], v[74:75], v[66:67]
	v_add_f64_e64 v[72:73], v[68:69], -v[72:73]
	v_add_f64_e64 v[74:75], v[70:71], -v[74:75]
	v_add_f64_e32 v[99:100], v[99:100], v[60:61]
	v_add_f64_e32 v[101:102], v[101:102], v[62:63]
	ds_load_b128 v[60:63], v93
	s_wait_alu 0xfffe
	v_mul_f64_e32 v[76:77], s[4:5], v[76:77]
	v_mul_f64_e32 v[78:79], s[4:5], v[78:79]
	s_mov_b32 s4, 0x429ad128
	v_mul_f64_e32 v[95:96], s[6:7], v[80:81]
	v_mul_f64_e32 v[97:98], s[6:7], v[82:83]
	;; [unrolled: 1-line block ×4, first 2 shown]
	s_mov_b32 s5, 0x3febfeb5
	s_mov_b32 s10, 0xaaaaaaaa
	s_wait_alu 0xfffe
	v_mul_f64_e32 v[111:112], s[4:5], v[107:108]
	v_mul_f64_e32 v[113:114], s[4:5], v[109:110]
	s_mov_b32 s11, 0xbff2aaaa
	v_add_f64_e32 v[64:65], v[64:65], v[68:69]
	v_add_f64_e32 v[66:67], v[66:67], v[70:71]
	s_wait_dscnt 0x0
	v_add_f64_e32 v[60:61], v[60:61], v[99:100]
	v_add_f64_e32 v[62:63], v[62:63], v[101:102]
	v_fma_f64 v[68:69], v[80:81], s[6:7], v[76:77]
	v_fma_f64 v[70:71], v[82:83], s[6:7], v[78:79]
	v_fma_f64 v[80:81], v[84:85], s[14:15], -v[95:96]
	v_fma_f64 v[82:83], v[86:87], s[14:15], -v[97:98]
	s_mov_b32 s15, 0xbfe77f67
	v_fma_f64 v[95:96], v[72:73], s[16:17], v[103:104]
	v_fma_f64 v[97:98], v[74:75], s[16:17], v[105:106]
	s_mov_b32 s17, 0xbfd5d0dc
	v_fma_f64 v[103:104], v[107:108], s[4:5], -v[103:104]
	v_fma_f64 v[105:106], v[109:110], s[4:5], -v[105:106]
	s_wait_alu 0xfffe
	v_fma_f64 v[72:73], v[72:73], s[16:17], -v[111:112]
	v_fma_f64 v[74:75], v[74:75], s[16:17], -v[113:114]
	;; [unrolled: 1-line block ×4, first 2 shown]
	s_mov_b32 s4, 0x37c3f68c
	s_mov_b32 s5, 0x3fdc38aa
	v_fma_f64 v[99:100], v[99:100], s[10:11], v[60:61]
	v_fma_f64 v[101:102], v[101:102], s[10:11], v[62:63]
	s_wait_alu 0xfffe
	v_fma_f64 v[86:87], v[64:65], s[4:5], v[95:96]
	v_fma_f64 v[84:85], v[66:67], s[4:5], v[97:98]
	;; [unrolled: 1-line block ×6, first 2 shown]
	v_add_f64_e32 v[107:108], v[68:69], v[99:100]
	v_add_f64_e32 v[109:110], v[70:71], v[101:102]
	;; [unrolled: 1-line block ×7, first 2 shown]
	v_add_f64_e64 v[66:67], v[109:110], -v[86:87]
	v_add_f64_e32 v[68:69], v[105:106], v[111:112]
	v_add_f64_e64 v[70:71], v[113:114], -v[103:104]
	v_add_f64_e64 v[72:73], v[76:77], -v[97:98]
	v_add_f64_e32 v[74:75], v[95:96], v[78:79]
	v_add_f64_e32 v[76:77], v[97:98], v[76:77]
	v_add_f64_e64 v[78:79], v[78:79], -v[95:96]
	v_add_f64_e64 v[80:81], v[111:112], -v[105:106]
	v_add_f64_e32 v[82:83], v[103:104], v[113:114]
	v_add_f64_e64 v[84:85], v[107:108], -v[84:85]
	v_add_f64_e32 v[86:87], v[86:87], v[109:110]
	ds_store_b128 v93, v[60:63]
	ds_store_b128 v94, v[64:67] offset:256
	ds_store_b128 v94, v[68:71] offset:512
	;; [unrolled: 1-line block ×6, first 2 shown]
	global_wb scope:SCOPE_SE
	s_wait_dscnt 0x0
	s_barrier_signal -1
	s_barrier_wait -1
	global_inv scope:SCOPE_SE
	s_and_saveexec_b32 s6, vcc_lo
	s_cbranch_execz .LBB0_9
; %bb.8:
	global_load_b128 v[95:98], v89, s[8:9] offset:1792
	s_add_nc_u64 s[4:5], s[8:9], 0x700
	s_clause 0xe
	global_load_b128 v[99:102], v89, s[4:5] offset:112
	global_load_b128 v[103:106], v89, s[4:5] offset:224
	;; [unrolled: 1-line block ×15, first 2 shown]
	ds_load_b128 v[159:162], v93
	s_wait_loadcnt_dscnt 0xf00
	v_mul_f64_e32 v[163:164], v[161:162], v[97:98]
	v_mul_f64_e32 v[97:98], v[159:160], v[97:98]
	s_delay_alu instid0(VALU_DEP_2) | instskip(NEXT) | instid1(VALU_DEP_2)
	v_fma_f64 v[159:160], v[159:160], v[95:96], -v[163:164]
	v_fma_f64 v[161:162], v[161:162], v[95:96], v[97:98]
	ds_store_b128 v93, v[159:162]
	ds_load_b128 v[95:98], v94 offset:112
	ds_load_b128 v[159:162], v94 offset:224
	;; [unrolled: 1-line block ×15, first 2 shown]
	s_wait_loadcnt_dscnt 0xe0e
	v_mul_f64_e32 v[215:216], v[97:98], v[101:102]
	v_mul_f64_e32 v[101:102], v[95:96], v[101:102]
	s_wait_loadcnt_dscnt 0xd0d
	v_mul_f64_e32 v[217:218], v[161:162], v[105:106]
	v_mul_f64_e32 v[105:106], v[159:160], v[105:106]
	;; [unrolled: 3-line block ×15, first 2 shown]
	v_fma_f64 v[95:96], v[95:96], v[99:100], -v[215:216]
	v_fma_f64 v[97:98], v[97:98], v[99:100], v[101:102]
	v_fma_f64 v[99:100], v[159:160], v[103:104], -v[217:218]
	v_fma_f64 v[101:102], v[161:162], v[103:104], v[105:106]
	;; [unrolled: 2-line block ×15, first 2 shown]
	ds_store_b128 v94, v[95:98] offset:112
	ds_store_b128 v94, v[99:102] offset:224
	;; [unrolled: 1-line block ×15, first 2 shown]
.LBB0_9:
	s_wait_alu 0xfffe
	s_or_b32 exec_lo, exec_lo, s6
	global_wb scope:SCOPE_SE
	s_wait_dscnt 0x0
	s_barrier_signal -1
	s_barrier_wait -1
	global_inv scope:SCOPE_SE
	s_and_saveexec_b32 s4, vcc_lo
	s_cbranch_execz .LBB0_11
; %bb.10:
	ds_load_b128 v[60:63], v93
	ds_load_b128 v[64:67], v94 offset:112
	ds_load_b128 v[68:71], v94 offset:224
	;; [unrolled: 1-line block ×15, first 2 shown]
.LBB0_11:
	s_wait_alu 0xfffe
	s_or_b32 exec_lo, exec_lo, s4
	global_wb scope:SCOPE_SE
	s_wait_dscnt 0x0
	s_barrier_signal -1
	s_barrier_wait -1
	global_inv scope:SCOPE_SE
	s_and_saveexec_b32 s10, vcc_lo
	s_cbranch_execz .LBB0_13
; %bb.12:
	v_add_f64_e64 v[46:47], v[70:71], -v[46:47]
	v_add_f64_e64 v[56:57], v[84:85], -v[56:57]
	;; [unrolled: 1-line block ×16, first 2 shown]
	s_mov_b32 s4, 0x667f3bcd
	s_mov_b32 s5, 0x3fe6a09e
	s_mov_b32 s7, 0xbfe6a09e
	s_wait_alu 0xfffe
	s_mov_b32 s6, s4
	s_mov_b32 s14, 0xcf328d46
	;; [unrolled: 1-line block ×5, first 2 shown]
	s_wait_alu 0xfffe
	s_mov_b32 s18, s16
	s_mov_b32 s21, 0xbfed906b
	;; [unrolled: 1-line block ×3, first 2 shown]
	v_add_lshl_u32 v92, v92, v89, 4
	v_fma_f64 v[70:71], v[70:71], 2.0, -v[46:47]
	v_add_f64_e64 v[97:98], v[46:47], -v[56:57]
	v_fma_f64 v[62:63], v[62:63], 2.0, -v[30:31]
	v_add_f64_e64 v[95:96], v[30:31], -v[36:37]
	v_fma_f64 v[56:57], v[84:85], 2.0, -v[56:57]
	v_add_f64_e32 v[99:100], v[58:59], v[44:45]
	v_fma_f64 v[68:69], v[68:69], 2.0, -v[44:45]
	v_add_f64_e64 v[103:104], v[42:43], -v[52:53]
	v_fma_f64 v[58:59], v[86:87], 2.0, -v[58:59]
	v_add_f64_e64 v[101:102], v[34:35], -v[48:49]
	v_fma_f64 v[48:49], v[80:81], 2.0, -v[48:49]
	v_add_f64_e32 v[105:106], v[54:55], v[40:41]
	v_fma_f64 v[72:73], v[72:73], 2.0, -v[40:41]
	v_add_f64_e32 v[107:108], v[50:51], v[32:33]
	;; [unrolled: 2-line block ×3, first 2 shown]
	v_fma_f64 v[38:39], v[78:79], 2.0, -v[38:39]
	v_fma_f64 v[24:25], v[24:25], 2.0, -v[52:53]
	;; [unrolled: 1-line block ×10, first 2 shown]
	v_fma_f64 v[60:61], v[97:98], s[4:5], v[95:96]
	v_fma_f64 v[44:45], v[44:45], 2.0, -v[99:100]
	v_add_f64_e64 v[56:57], v[68:69], -v[56:57]
	v_fma_f64 v[42:43], v[42:43], 2.0, -v[103:104]
	v_add_f64_e64 v[58:59], v[70:71], -v[58:59]
	v_fma_f64 v[34:35], v[34:35], 2.0, -v[101:102]
	v_fma_f64 v[74:75], v[103:104], s[4:5], v[101:102]
	v_fma_f64 v[40:41], v[40:41], 2.0, -v[105:106]
	v_fma_f64 v[32:33], v[32:33], 2.0, -v[107:108]
	v_add_f64_e64 v[48:49], v[64:65], -v[48:49]
	v_fma_f64 v[28:29], v[28:29], 2.0, -v[109:110]
	v_add_f64_e64 v[38:39], v[62:63], -v[38:39]
	v_add_f64_e64 v[24:25], v[72:73], -v[24:25]
	v_fma_f64 v[76:77], v[105:106], s[4:5], v[107:108]
	v_fma_f64 v[78:79], v[99:100], s[4:5], v[109:110]
	v_add_f64_e64 v[50:51], v[52:53], -v[50:51]
	v_add_f64_e64 v[26:27], v[66:67], -v[26:27]
	;; [unrolled: 1-line block ×3, first 2 shown]
	v_fma_f64 v[80:81], v[46:47], s[6:7], v[30:31]
	v_fma_f64 v[60:61], v[99:100], s[6:7], v[60:61]
	v_fma_f64 v[70:71], v[70:71], 2.0, -v[58:59]
	v_fma_f64 v[82:83], v[42:43], s[6:7], v[34:35]
	v_fma_f64 v[74:75], v[105:106], s[6:7], v[74:75]
	;; [unrolled: 1-line block ×3, first 2 shown]
	v_fma_f64 v[64:65], v[64:65], 2.0, -v[48:49]
	v_fma_f64 v[86:87], v[44:45], s[6:7], v[28:29]
	v_fma_f64 v[62:63], v[62:63], 2.0, -v[38:39]
	v_fma_f64 v[72:73], v[72:73], 2.0, -v[24:25]
	v_fma_f64 v[76:77], v[103:104], s[4:5], v[76:77]
	v_fma_f64 v[78:79], v[97:98], s[4:5], v[78:79]
	v_add_f64_e64 v[97:98], v[38:39], -v[56:57]
	v_add_f64_e64 v[24:25], v[50:51], -v[24:25]
	v_add_f64_e32 v[99:100], v[26:27], v[48:49]
	v_add_f64_e32 v[103:104], v[36:37], v[58:59]
	v_fma_f64 v[54:55], v[54:55], 2.0, -v[36:37]
	v_fma_f64 v[56:57], v[68:69], 2.0, -v[56:57]
	;; [unrolled: 1-line block ×4, first 2 shown]
	v_fma_f64 v[80:81], v[44:45], s[6:7], v[80:81]
	v_fma_f64 v[68:69], v[95:96], 2.0, -v[60:61]
	v_fma_f64 v[44:45], v[40:41], s[6:7], v[82:83]
	v_fma_f64 v[58:59], v[42:43], s[4:5], v[84:85]
	;; [unrolled: 1-line block ×3, first 2 shown]
	v_fma_f64 v[46:47], v[101:102], 2.0, -v[74:75]
	v_add_f64_e64 v[40:41], v[64:65], -v[72:73]
	v_fma_f64 v[42:43], v[107:108], 2.0, -v[76:77]
	v_fma_f64 v[86:87], v[109:110], 2.0, -v[78:79]
	;; [unrolled: 1-line block ×6, first 2 shown]
	v_add_f64_e64 v[66:67], v[62:63], -v[70:71]
	v_add_f64_e64 v[70:71], v[54:55], -v[56:57]
	;; [unrolled: 1-line block ×3, first 2 shown]
	v_fma_f64 v[26:27], v[74:75], s[14:15], v[60:61]
	v_fma_f64 v[95:96], v[30:31], 2.0, -v[80:81]
	v_fma_f64 v[56:57], v[34:35], 2.0, -v[44:45]
	v_fma_f64 v[34:35], v[76:77], s[14:15], v[78:79]
	s_wait_alu 0xfffe
	v_fma_f64 v[107:108], v[44:45], s[18:19], v[80:81]
	v_fma_f64 v[101:102], v[32:33], 2.0, -v[58:59]
	v_fma_f64 v[32:33], v[99:100], s[4:5], v[103:104]
	v_fma_f64 v[105:106], v[28:29], 2.0, -v[82:83]
	v_fma_f64 v[28:29], v[24:25], s[4:5], v[97:98]
	v_fma_f64 v[38:39], v[46:47], s[16:17], v[68:69]
	;; [unrolled: 1-line block ×6, first 2 shown]
	v_fma_f64 v[117:118], v[62:63], 2.0, -v[66:67]
	v_fma_f64 v[119:120], v[54:55], 2.0, -v[70:71]
	;; [unrolled: 1-line block ×4, first 2 shown]
	v_fma_f64 v[26:27], v[76:77], s[16:17], v[26:27]
	v_fma_f64 v[62:63], v[56:57], s[20:21], v[95:96]
	;; [unrolled: 1-line block ×6, first 2 shown]
	v_add_f64_e64 v[34:35], v[66:67], -v[40:41]
	v_fma_f64 v[38:39], v[42:43], s[20:21], v[38:39]
	v_fma_f64 v[42:43], v[48:49], s[6:7], v[111:112]
	v_add_f64_e32 v[32:33], v[70:71], v[36:37]
	v_fma_f64 v[40:41], v[50:51], s[4:5], v[113:114]
	v_fma_f64 v[36:37], v[46:47], s[14:15], v[115:116]
	;; [unrolled: 1-line block ×4, first 2 shown]
	v_add_f64_e64 v[50:51], v[117:118], -v[52:53]
	v_add_f64_e64 v[48:49], v[119:120], -v[54:55]
	v_fma_f64 v[58:59], v[60:61], 2.0, -v[26:27]
	v_fma_f64 v[54:55], v[101:102], s[16:17], v[62:63]
	v_fma_f64 v[52:53], v[56:57], s[18:19], v[64:65]
	v_fma_f64 v[62:63], v[97:98], 2.0, -v[30:31]
	v_fma_f64 v[60:61], v[103:104], 2.0, -v[28:29]
	;; [unrolled: 1-line block ×15, first 2 shown]
	ds_store_b128 v92, v[60:63] offset:96
	ds_store_b128 v92, v[56:59] offset:112
	ds_store_b128 v92, v[40:43] offset:160
	ds_store_b128 v92, v[36:39] offset:176
	ds_store_b128 v92, v[32:35] offset:192
	ds_store_b128 v92, v[44:47] offset:208
	ds_store_b128 v92, v[72:75] offset:32
	ds_store_b128 v92, v[68:71] offset:48
	ds_store_b128 v92, v[64:67] offset:64
	ds_store_b128 v92, v[76:79] offset:80
	ds_store_b128 v92, v[48:51] offset:128
	ds_store_b128 v92, v[52:55] offset:144
	ds_store_b128 v92, v[80:83]
	ds_store_b128 v92, v[84:87] offset:16
	ds_store_b128 v92, v[28:31] offset:224
	;; [unrolled: 1-line block ×3, first 2 shown]
.LBB0_13:
	s_wait_alu 0xfffe
	s_or_b32 exec_lo, exec_lo, s10
	global_wb scope:SCOPE_SE
	s_wait_dscnt 0x0
	s_barrier_signal -1
	s_barrier_wait -1
	global_inv scope:SCOPE_SE
	ds_load_b128 v[24:27], v93 offset:256
	ds_load_b128 v[28:31], v93 offset:512
	ds_load_b128 v[32:35], v93 offset:1536
	ds_load_b128 v[36:39], v93 offset:1280
	ds_load_b128 v[40:43], v93 offset:768
	ds_load_b128 v[44:47], v93 offset:1024
	s_mov_b32 s4, 0x37e14327
	s_mov_b32 s5, 0x3fe948f6
	;; [unrolled: 1-line block ×10, first 2 shown]
	s_wait_dscnt 0x5
	v_mul_f64_e32 v[48:49], v[6:7], v[26:27]
	v_mul_f64_e32 v[6:7], v[6:7], v[24:25]
	s_wait_dscnt 0x4
	v_mul_f64_e32 v[50:51], v[2:3], v[30:31]
	v_mul_f64_e32 v[2:3], v[2:3], v[28:29]
	;; [unrolled: 3-line block ×6, first 2 shown]
	v_fma_f64 v[24:25], v[4:5], v[24:25], v[48:49]
	v_fma_f64 v[4:5], v[4:5], v[26:27], -v[6:7]
	v_fma_f64 v[6:7], v[0:1], v[28:29], v[50:51]
	v_fma_f64 v[0:1], v[0:1], v[30:31], -v[2:3]
	;; [unrolled: 2-line block ×6, first 2 shown]
	v_add_f64_e32 v[14:15], v[24:25], v[2:3]
	v_add_f64_e32 v[26:27], v[4:5], v[8:9]
	;; [unrolled: 1-line block ×4, first 2 shown]
	v_add_f64_e64 v[6:7], v[6:7], -v[10:11]
	v_add_f64_e64 v[10:11], v[0:1], -v[20:21]
	v_add_f64_e32 v[32:33], v[22:23], v[18:19]
	v_add_f64_e32 v[34:35], v[16:17], v[12:13]
	v_add_f64_e64 v[18:19], v[18:19], -v[22:23]
	v_add_f64_e64 v[12:13], v[12:13], -v[16:17]
	;; [unrolled: 1-line block ×4, first 2 shown]
	v_add_f64_e32 v[0:1], v[28:29], v[14:15]
	v_add_f64_e32 v[2:3], v[30:31], v[26:27]
	v_add_f64_e64 v[8:9], v[14:15], -v[32:33]
	v_add_f64_e64 v[20:21], v[26:27], -v[34:35]
	v_add_f64_e64 v[22:23], v[32:33], -v[28:29]
	v_add_f64_e64 v[24:25], v[34:35], -v[30:31]
	v_add_f64_e64 v[36:37], v[18:19], -v[6:7]
	v_add_f64_e64 v[38:39], v[12:13], -v[10:11]
	v_add_f64_e64 v[40:41], v[6:7], -v[16:17]
	v_add_f64_e64 v[42:43], v[10:11], -v[4:5]
	v_add_f64_e64 v[14:15], v[28:29], -v[14:15]
	v_add_f64_e64 v[26:27], v[30:31], -v[26:27]
	v_add_f64_e32 v[6:7], v[18:19], v[6:7]
	v_add_f64_e32 v[10:11], v[12:13], v[10:11]
	v_add_f64_e64 v[18:19], v[16:17], -v[18:19]
	v_add_f64_e64 v[12:13], v[4:5], -v[12:13]
	v_add_f64_e32 v[32:33], v[32:33], v[0:1]
	v_add_f64_e32 v[34:35], v[34:35], v[2:3]
	ds_load_b128 v[0:3], v93
	s_wait_alu 0xfffe
	v_mul_f64_e32 v[8:9], s[4:5], v[8:9]
	v_mul_f64_e32 v[20:21], s[4:5], v[20:21]
	s_mov_b32 s4, 0x429ad128
	v_mul_f64_e32 v[28:29], s[6:7], v[22:23]
	v_mul_f64_e32 v[30:31], s[6:7], v[24:25]
	;; [unrolled: 1-line block ×4, first 2 shown]
	s_mov_b32 s5, 0xbfebfeb5
	s_mov_b32 s10, 0xaaaaaaaa
	s_wait_alu 0xfffe
	v_mul_f64_e32 v[44:45], s[4:5], v[40:41]
	v_mul_f64_e32 v[46:47], s[4:5], v[42:43]
	s_mov_b32 s11, 0xbff2aaaa
	v_add_f64_e32 v[6:7], v[6:7], v[16:17]
	v_add_f64_e32 v[4:5], v[10:11], v[4:5]
	s_wait_dscnt 0x0
	v_add_f64_e32 v[0:1], v[0:1], v[32:33]
	v_add_f64_e32 v[2:3], v[2:3], v[34:35]
	v_fma_f64 v[10:11], v[22:23], s[6:7], v[8:9]
	v_fma_f64 v[16:17], v[24:25], s[6:7], v[20:21]
	v_fma_f64 v[22:23], v[14:15], s[14:15], -v[28:29]
	v_fma_f64 v[24:25], v[26:27], s[14:15], -v[30:31]
	s_mov_b32 s15, 0xbfe77f67
	v_fma_f64 v[28:29], v[18:19], s[16:17], v[36:37]
	v_fma_f64 v[30:31], v[12:13], s[16:17], v[38:39]
	s_mov_b32 s17, 0x3fd5d0dc
	v_fma_f64 v[36:37], v[40:41], s[4:5], -v[36:37]
	v_fma_f64 v[38:39], v[42:43], s[4:5], -v[38:39]
	s_wait_alu 0xfffe
	v_fma_f64 v[18:19], v[18:19], s[16:17], -v[44:45]
	v_fma_f64 v[12:13], v[12:13], s[16:17], -v[46:47]
	;; [unrolled: 1-line block ×4, first 2 shown]
	s_mov_b32 s4, 0x37c3f68c
	s_mov_b32 s5, 0xbfdc38aa
	v_fma_f64 v[32:33], v[32:33], s[10:11], v[0:1]
	v_fma_f64 v[34:35], v[34:35], s[10:11], v[2:3]
	s_wait_alu 0xfffe
	v_fma_f64 v[26:27], v[6:7], s[4:5], v[28:29]
	v_fma_f64 v[28:29], v[4:5], s[4:5], v[30:31]
	;; [unrolled: 1-line block ×6, first 2 shown]
	v_add_f64_e32 v[40:41], v[10:11], v[32:33]
	v_add_f64_e32 v[42:43], v[16:17], v[34:35]
	;; [unrolled: 1-line block ×7, first 2 shown]
	v_add_f64_e64 v[6:7], v[42:43], -v[26:27]
	v_add_f64_e32 v[8:9], v[38:39], v[44:45]
	v_add_f64_e64 v[10:11], v[46:47], -v[36:37]
	v_add_f64_e64 v[12:13], v[16:17], -v[30:31]
	v_add_f64_e32 v[14:15], v[20:21], v[18:19]
	v_add_f64_e32 v[16:17], v[30:31], v[16:17]
	v_add_f64_e64 v[18:19], v[18:19], -v[20:21]
	v_add_f64_e64 v[20:21], v[44:45], -v[38:39]
	v_add_f64_e32 v[22:23], v[36:37], v[46:47]
	v_add_f64_e64 v[24:25], v[40:41], -v[28:29]
	v_add_f64_e32 v[26:27], v[26:27], v[42:43]
	ds_store_b128 v93, v[0:3]
	ds_store_b128 v94, v[4:7] offset:256
	ds_store_b128 v94, v[8:11] offset:512
	;; [unrolled: 1-line block ×6, first 2 shown]
	global_wb scope:SCOPE_SE
	s_wait_dscnt 0x0
	s_barrier_signal -1
	s_barrier_wait -1
	global_inv scope:SCOPE_SE
	s_and_b32 exec_lo, exec_lo, vcc_lo
	s_cbranch_execz .LBB0_15
; %bb.14:
	s_clause 0xc
	global_load_b128 v[0:3], v89, s[8:9]
	global_load_b128 v[4:7], v89, s[8:9] offset:112
	global_load_b128 v[8:11], v89, s[8:9] offset:224
	;; [unrolled: 1-line block ×12, first 2 shown]
	v_mad_co_u64_u32 v[60:61], null, s0, v91, 0
	v_mad_co_u64_u32 v[52:53], null, s2, v88, 0
	s_mov_b32 s4, 0x92492492
	s_mov_b32 s5, 0x3f824924
	s_delay_alu instid0(VALU_DEP_2) | instskip(NEXT) | instid1(VALU_DEP_1)
	v_mov_b32_e32 v54, v61
	v_mad_co_u64_u32 v[55:56], null, s3, v88, v[53:54]
	s_mul_u64 s[2:3], s[0:1], 0x70
	s_delay_alu instid0(VALU_DEP_1) | instskip(SKIP_1) | instid1(VALU_DEP_2)
	v_mov_b32_e32 v53, v55
	v_mad_co_u64_u32 v[56:57], null, s1, v91, v[54:55]
	v_lshlrev_b64_e32 v[62:63], 4, v[52:53]
	s_delay_alu instid0(VALU_DEP_2)
	v_mov_b32_e32 v61, v56
	ds_load_b128 v[52:55], v93
	ds_load_b128 v[56:59], v94 offset:112
	v_add_co_u32 v88, vcc_lo, s12, v62
	v_add_co_ci_u32_e32 v93, vcc_lo, s13, v63, vcc_lo
	v_lshlrev_b64_e32 v[68:69], 4, v[60:61]
	ds_load_b128 v[60:63], v94 offset:224
	ds_load_b128 v[64:67], v94 offset:336
	v_add_co_u32 v91, vcc_lo, v88, v68
	s_wait_alu 0xfffd
	v_add_co_ci_u32_e32 v92, vcc_lo, v93, v69, vcc_lo
	ds_load_b128 v[68:71], v94 offset:448
	ds_load_b128 v[72:75], v94 offset:560
	;; [unrolled: 1-line block ×10, first 2 shown]
	s_wait_alu 0xfffe
	v_add_co_u32 v115, vcc_lo, v91, s2
	s_wait_alu 0xfffd
	v_add_co_ci_u32_e32 v116, vcc_lo, s3, v92, vcc_lo
	s_delay_alu instid0(VALU_DEP_2) | instskip(SKIP_1) | instid1(VALU_DEP_2)
	v_add_co_u32 v117, vcc_lo, v115, s2
	s_wait_alu 0xfffd
	v_add_co_ci_u32_e32 v118, vcc_lo, s3, v116, vcc_lo
	s_delay_alu instid0(VALU_DEP_2) | instskip(SKIP_1) | instid1(VALU_DEP_2)
	;; [unrolled: 4-line block ×6, first 2 shown]
	v_add_co_u32 v153, vcc_lo, v151, s2
	s_wait_alu 0xfffd
	v_add_co_ci_u32_e32 v154, vcc_lo, s3, v152, vcc_lo
	s_delay_alu instid0(VALU_DEP_1)
	v_mad_co_u64_u32 v[155:156], null, 0xe0, s0, v[153:154]
	s_wait_loadcnt_dscnt 0xc0d
	v_mul_f64_e32 v[125:126], v[54:55], v[2:3]
	v_mul_f64_e32 v[2:3], v[52:53], v[2:3]
	s_wait_loadcnt_dscnt 0xb0c
	v_mul_f64_e32 v[127:128], v[58:59], v[6:7]
	v_mul_f64_e32 v[6:7], v[56:57], v[6:7]
	;; [unrolled: 3-line block ×13, first 2 shown]
	v_fma_f64 v[52:53], v[52:53], v[0:1], v[125:126]
	v_fma_f64 v[2:3], v[0:1], v[54:55], -v[2:3]
	v_mov_b32_e32 v0, v156
	v_fma_f64 v[54:55], v[56:57], v[4:5], v[127:128]
	v_fma_f64 v[6:7], v[4:5], v[58:59], -v[6:7]
	v_fma_f64 v[56:57], v[60:61], v[8:9], v[129:130]
	v_fma_f64 v[10:11], v[8:9], v[62:63], -v[10:11]
	;; [unrolled: 2-line block ×12, first 2 shown]
	v_mad_co_u64_u32 v[80:81], null, 0xe0, s1, v[0:1]
	v_mad_co_u64_u32 v[78:79], null, s0, v90, 0
	v_mul_f64_e32 v[0:1], s[4:5], v[52:53]
	v_mul_f64_e32 v[2:3], s[4:5], v[2:3]
	s_delay_alu instid0(VALU_DEP_3)
	v_mad_co_u64_u32 v[52:53], null, s1, v90, v[79:80]
	v_mul_f64_e32 v[4:5], s[4:5], v[54:55]
	v_mul_f64_e32 v[6:7], s[4:5], v[6:7]
	v_mul_f64_e32 v[8:9], s[4:5], v[56:57]
	v_mul_f64_e32 v[10:11], s[4:5], v[10:11]
	v_mul_f64_e32 v[12:13], s[4:5], v[58:59]
	v_mul_f64_e32 v[14:15], s[4:5], v[14:15]
	v_mul_f64_e32 v[16:17], s[4:5], v[60:61]
	v_mul_f64_e32 v[18:19], s[4:5], v[18:19]
	v_mul_f64_e32 v[20:21], s[4:5], v[62:63]
	v_mul_f64_e32 v[22:23], s[4:5], v[22:23]
	v_mul_f64_e32 v[24:25], s[4:5], v[64:65]
	v_mul_f64_e32 v[26:27], s[4:5], v[26:27]
	v_mul_f64_e32 v[28:29], s[4:5], v[66:67]
	v_mul_f64_e32 v[30:31], s[4:5], v[30:31]
	v_mul_f64_e32 v[32:33], s[4:5], v[68:69]
	v_mul_f64_e32 v[34:35], s[4:5], v[34:35]
	v_mul_f64_e32 v[36:37], s[4:5], v[70:71]
	v_mul_f64_e32 v[38:39], s[4:5], v[38:39]
	v_mul_f64_e32 v[40:41], s[4:5], v[72:73]
	v_mul_f64_e32 v[42:43], s[4:5], v[42:43]
	v_mul_f64_e32 v[44:45], s[4:5], v[74:75]
	v_mul_f64_e32 v[46:47], s[4:5], v[46:47]
	v_mul_f64_e32 v[48:49], s[4:5], v[76:77]
	v_mul_f64_e32 v[50:51], s[4:5], v[50:51]
	v_dual_mov_b32 v156, v80 :: v_dual_mov_b32 v79, v52
	v_add_co_u32 v52, vcc_lo, v155, s2
	s_wait_alu 0xfffd
	s_delay_alu instid0(VALU_DEP_2) | instskip(NEXT) | instid1(VALU_DEP_3)
	v_add_co_ci_u32_e32 v53, vcc_lo, s3, v156, vcc_lo
	v_lshlrev_b64_e32 v[54:55], 4, v[78:79]
	s_delay_alu instid0(VALU_DEP_3) | instskip(SKIP_1) | instid1(VALU_DEP_3)
	v_add_co_u32 v56, vcc_lo, v52, s2
	s_wait_alu 0xfffd
	v_add_co_ci_u32_e32 v57, vcc_lo, s3, v53, vcc_lo
	s_delay_alu instid0(VALU_DEP_3)
	v_add_co_u32 v54, vcc_lo, v88, v54
	s_wait_alu 0xfffd
	v_add_co_ci_u32_e32 v55, vcc_lo, v93, v55, vcc_lo
	v_add_co_u32 v58, vcc_lo, v56, s2
	s_wait_alu 0xfffd
	v_add_co_ci_u32_e32 v59, vcc_lo, s3, v57, vcc_lo
	s_clause 0x4
	global_store_b128 v[91:92], v[0:3], off
	global_store_b128 v[115:116], v[4:7], off
	;; [unrolled: 1-line block ×13, first 2 shown]
	global_load_b128 v[0:3], v89, s[8:9] offset:1456
	v_add_co_u32 v12, vcc_lo, v58, s2
	s_wait_alu 0xfffd
	v_add_co_ci_u32_e32 v13, vcc_lo, s3, v59, vcc_lo
	s_wait_loadcnt_dscnt 0x0
	v_mul_f64_e32 v[4:5], v[113:114], v[2:3]
	v_mul_f64_e32 v[2:3], v[111:112], v[2:3]
	s_delay_alu instid0(VALU_DEP_2) | instskip(NEXT) | instid1(VALU_DEP_2)
	v_fma_f64 v[4:5], v[111:112], v[0:1], v[4:5]
	v_fma_f64 v[2:3], v[0:1], v[113:114], -v[2:3]
	s_delay_alu instid0(VALU_DEP_2) | instskip(NEXT) | instid1(VALU_DEP_2)
	v_mul_f64_e32 v[0:1], s[4:5], v[4:5]
	v_mul_f64_e32 v[2:3], s[4:5], v[2:3]
	global_store_b128 v[12:13], v[0:3], off
	global_load_b128 v[0:3], v89, s[8:9] offset:1568
	ds_load_b128 v[4:7], v94 offset:1568
	ds_load_b128 v[8:11], v94 offset:1680
	s_wait_loadcnt_dscnt 0x1
	v_mul_f64_e32 v[14:15], v[6:7], v[2:3]
	v_mul_f64_e32 v[2:3], v[4:5], v[2:3]
	s_delay_alu instid0(VALU_DEP_2) | instskip(NEXT) | instid1(VALU_DEP_2)
	v_fma_f64 v[4:5], v[4:5], v[0:1], v[14:15]
	v_fma_f64 v[2:3], v[0:1], v[6:7], -v[2:3]
	s_delay_alu instid0(VALU_DEP_2) | instskip(NEXT) | instid1(VALU_DEP_2)
	v_mul_f64_e32 v[0:1], s[4:5], v[4:5]
	v_mul_f64_e32 v[2:3], s[4:5], v[2:3]
	v_add_co_u32 v4, vcc_lo, v12, s2
	s_wait_alu 0xfffd
	v_add_co_ci_u32_e32 v5, vcc_lo, s3, v13, vcc_lo
	global_store_b128 v[4:5], v[0:3], off
	global_load_b128 v[0:3], v89, s[8:9] offset:1680
	v_add_co_u32 v4, vcc_lo, v4, s2
	s_wait_alu 0xfffd
	v_add_co_ci_u32_e32 v5, vcc_lo, s3, v5, vcc_lo
	s_wait_loadcnt_dscnt 0x0
	v_mul_f64_e32 v[6:7], v[10:11], v[2:3]
	v_mul_f64_e32 v[2:3], v[8:9], v[2:3]
	s_delay_alu instid0(VALU_DEP_2) | instskip(NEXT) | instid1(VALU_DEP_2)
	v_fma_f64 v[6:7], v[8:9], v[0:1], v[6:7]
	v_fma_f64 v[2:3], v[0:1], v[10:11], -v[2:3]
	s_delay_alu instid0(VALU_DEP_2) | instskip(NEXT) | instid1(VALU_DEP_2)
	v_mul_f64_e32 v[0:1], s[4:5], v[6:7]
	v_mul_f64_e32 v[2:3], s[4:5], v[2:3]
	global_store_b128 v[4:5], v[0:3], off
.LBB0_15:
	s_nop 0
	s_sendmsg sendmsg(MSG_DEALLOC_VGPRS)
	s_endpgm
	.section	.rodata,"a",@progbits
	.p2align	6, 0x0
	.amdhsa_kernel bluestein_single_back_len112_dim1_dp_op_CI_CI
		.amdhsa_group_segment_fixed_size 28672
		.amdhsa_private_segment_fixed_size 0
		.amdhsa_kernarg_size 104
		.amdhsa_user_sgpr_count 2
		.amdhsa_user_sgpr_dispatch_ptr 0
		.amdhsa_user_sgpr_queue_ptr 0
		.amdhsa_user_sgpr_kernarg_segment_ptr 1
		.amdhsa_user_sgpr_dispatch_id 0
		.amdhsa_user_sgpr_private_segment_size 0
		.amdhsa_wavefront_size32 1
		.amdhsa_uses_dynamic_stack 0
		.amdhsa_enable_private_segment 0
		.amdhsa_system_sgpr_workgroup_id_x 1
		.amdhsa_system_sgpr_workgroup_id_y 0
		.amdhsa_system_sgpr_workgroup_id_z 0
		.amdhsa_system_sgpr_workgroup_info 0
		.amdhsa_system_vgpr_workitem_id 0
		.amdhsa_next_free_vgpr 245
		.amdhsa_next_free_sgpr 22
		.amdhsa_reserve_vcc 1
		.amdhsa_float_round_mode_32 0
		.amdhsa_float_round_mode_16_64 0
		.amdhsa_float_denorm_mode_32 3
		.amdhsa_float_denorm_mode_16_64 3
		.amdhsa_fp16_overflow 0
		.amdhsa_workgroup_processor_mode 1
		.amdhsa_memory_ordered 1
		.amdhsa_forward_progress 0
		.amdhsa_round_robin_scheduling 0
		.amdhsa_exception_fp_ieee_invalid_op 0
		.amdhsa_exception_fp_denorm_src 0
		.amdhsa_exception_fp_ieee_div_zero 0
		.amdhsa_exception_fp_ieee_overflow 0
		.amdhsa_exception_fp_ieee_underflow 0
		.amdhsa_exception_fp_ieee_inexact 0
		.amdhsa_exception_int_div_zero 0
	.end_amdhsa_kernel
	.text
.Lfunc_end0:
	.size	bluestein_single_back_len112_dim1_dp_op_CI_CI, .Lfunc_end0-bluestein_single_back_len112_dim1_dp_op_CI_CI
                                        ; -- End function
	.section	.AMDGPU.csdata,"",@progbits
; Kernel info:
; codeLenInByte = 9556
; NumSgprs: 24
; NumVgprs: 245
; ScratchSize: 0
; MemoryBound: 0
; FloatMode: 240
; IeeeMode: 1
; LDSByteSize: 28672 bytes/workgroup (compile time only)
; SGPRBlocks: 2
; VGPRBlocks: 30
; NumSGPRsForWavesPerEU: 24
; NumVGPRsForWavesPerEU: 245
; Occupancy: 5
; WaveLimiterHint : 1
; COMPUTE_PGM_RSRC2:SCRATCH_EN: 0
; COMPUTE_PGM_RSRC2:USER_SGPR: 2
; COMPUTE_PGM_RSRC2:TRAP_HANDLER: 0
; COMPUTE_PGM_RSRC2:TGID_X_EN: 1
; COMPUTE_PGM_RSRC2:TGID_Y_EN: 0
; COMPUTE_PGM_RSRC2:TGID_Z_EN: 0
; COMPUTE_PGM_RSRC2:TIDIG_COMP_CNT: 0
	.text
	.p2alignl 7, 3214868480
	.fill 96, 4, 3214868480
	.type	__hip_cuid_f582257df38a2418,@object ; @__hip_cuid_f582257df38a2418
	.section	.bss,"aw",@nobits
	.globl	__hip_cuid_f582257df38a2418
__hip_cuid_f582257df38a2418:
	.byte	0                               ; 0x0
	.size	__hip_cuid_f582257df38a2418, 1

	.ident	"AMD clang version 19.0.0git (https://github.com/RadeonOpenCompute/llvm-project roc-6.4.0 25133 c7fe45cf4b819c5991fe208aaa96edf142730f1d)"
	.section	".note.GNU-stack","",@progbits
	.addrsig
	.addrsig_sym __hip_cuid_f582257df38a2418
	.amdgpu_metadata
---
amdhsa.kernels:
  - .args:
      - .actual_access:  read_only
        .address_space:  global
        .offset:         0
        .size:           8
        .value_kind:     global_buffer
      - .actual_access:  read_only
        .address_space:  global
        .offset:         8
        .size:           8
        .value_kind:     global_buffer
      - .actual_access:  read_only
        .address_space:  global
        .offset:         16
        .size:           8
        .value_kind:     global_buffer
      - .actual_access:  read_only
        .address_space:  global
        .offset:         24
        .size:           8
        .value_kind:     global_buffer
      - .actual_access:  read_only
        .address_space:  global
        .offset:         32
        .size:           8
        .value_kind:     global_buffer
      - .offset:         40
        .size:           8
        .value_kind:     by_value
      - .address_space:  global
        .offset:         48
        .size:           8
        .value_kind:     global_buffer
      - .address_space:  global
        .offset:         56
        .size:           8
        .value_kind:     global_buffer
      - .address_space:  global
        .offset:         64
        .size:           8
        .value_kind:     global_buffer
      - .address_space:  global
        .offset:         72
        .size:           8
        .value_kind:     global_buffer
      - .offset:         80
        .size:           4
        .value_kind:     by_value
      - .address_space:  global
        .offset:         88
        .size:           8
        .value_kind:     global_buffer
      - .address_space:  global
        .offset:         96
        .size:           8
        .value_kind:     global_buffer
    .group_segment_fixed_size: 28672
    .kernarg_segment_align: 8
    .kernarg_segment_size: 104
    .language:       OpenCL C
    .language_version:
      - 2
      - 0
    .max_flat_workgroup_size: 256
    .name:           bluestein_single_back_len112_dim1_dp_op_CI_CI
    .private_segment_fixed_size: 0
    .sgpr_count:     24
    .sgpr_spill_count: 0
    .symbol:         bluestein_single_back_len112_dim1_dp_op_CI_CI.kd
    .uniform_work_group_size: 1
    .uses_dynamic_stack: false
    .vgpr_count:     245
    .vgpr_spill_count: 0
    .wavefront_size: 32
    .workgroup_processor_mode: 1
amdhsa.target:   amdgcn-amd-amdhsa--gfx1201
amdhsa.version:
  - 1
  - 2
...

	.end_amdgpu_metadata
